;; amdgpu-corpus repo=ROCm/rocFFT kind=compiled arch=gfx906 opt=O3
	.text
	.amdgcn_target "amdgcn-amd-amdhsa--gfx906"
	.amdhsa_code_object_version 6
	.protected	fft_rtc_fwd_len840_factors_2_2_2_3_5_7_wgs_56_tpt_56_halfLds_sp_ip_CI_unitstride_sbrr_C2R_dirReg ; -- Begin function fft_rtc_fwd_len840_factors_2_2_2_3_5_7_wgs_56_tpt_56_halfLds_sp_ip_CI_unitstride_sbrr_C2R_dirReg
	.globl	fft_rtc_fwd_len840_factors_2_2_2_3_5_7_wgs_56_tpt_56_halfLds_sp_ip_CI_unitstride_sbrr_C2R_dirReg
	.p2align	8
	.type	fft_rtc_fwd_len840_factors_2_2_2_3_5_7_wgs_56_tpt_56_halfLds_sp_ip_CI_unitstride_sbrr_C2R_dirReg,@function
fft_rtc_fwd_len840_factors_2_2_2_3_5_7_wgs_56_tpt_56_halfLds_sp_ip_CI_unitstride_sbrr_C2R_dirReg: ; @fft_rtc_fwd_len840_factors_2_2_2_3_5_7_wgs_56_tpt_56_halfLds_sp_ip_CI_unitstride_sbrr_C2R_dirReg
; %bb.0:
	s_load_dwordx2 s[2:3], s[4:5], 0x50
	s_load_dwordx4 s[8:11], s[4:5], 0x0
	s_load_dwordx2 s[12:13], s[4:5], 0x18
	v_mul_u32_u24_e32 v1, 0x493, v0
	v_add_u32_sdwa v5, s6, v1 dst_sel:DWORD dst_unused:UNUSED_PAD src0_sel:DWORD src1_sel:WORD_1
	v_mov_b32_e32 v3, 0
	s_waitcnt lgkmcnt(0)
	v_cmp_lt_u64_e64 s[0:1], s[10:11], 2
	v_mov_b32_e32 v1, 0
	v_mov_b32_e32 v6, v3
	s_and_b64 vcc, exec, s[0:1]
	v_mov_b32_e32 v2, 0
	s_cbranch_vccnz .LBB0_8
; %bb.1:
	s_load_dwordx2 s[0:1], s[4:5], 0x10
	s_add_u32 s6, s12, 8
	s_addc_u32 s7, s13, 0
	v_mov_b32_e32 v1, 0
	v_mov_b32_e32 v2, 0
	s_waitcnt lgkmcnt(0)
	s_add_u32 s14, s0, 8
	s_addc_u32 s15, s1, 0
	s_mov_b64 s[16:17], 1
.LBB0_2:                                ; =>This Inner Loop Header: Depth=1
	s_load_dwordx2 s[18:19], s[14:15], 0x0
                                        ; implicit-def: $vgpr7_vgpr8
	s_waitcnt lgkmcnt(0)
	v_or_b32_e32 v4, s19, v6
	v_cmp_ne_u64_e32 vcc, 0, v[3:4]
	s_and_saveexec_b64 s[0:1], vcc
	s_xor_b64 s[20:21], exec, s[0:1]
	s_cbranch_execz .LBB0_4
; %bb.3:                                ;   in Loop: Header=BB0_2 Depth=1
	v_cvt_f32_u32_e32 v4, s18
	v_cvt_f32_u32_e32 v7, s19
	s_sub_u32 s0, 0, s18
	s_subb_u32 s1, 0, s19
	v_mac_f32_e32 v4, 0x4f800000, v7
	v_rcp_f32_e32 v4, v4
	v_mul_f32_e32 v4, 0x5f7ffffc, v4
	v_mul_f32_e32 v7, 0x2f800000, v4
	v_trunc_f32_e32 v7, v7
	v_mac_f32_e32 v4, 0xcf800000, v7
	v_cvt_u32_f32_e32 v7, v7
	v_cvt_u32_f32_e32 v4, v4
	v_mul_lo_u32 v8, s0, v7
	v_mul_hi_u32 v9, s0, v4
	v_mul_lo_u32 v11, s1, v4
	v_mul_lo_u32 v10, s0, v4
	v_add_u32_e32 v8, v9, v8
	v_add_u32_e32 v8, v8, v11
	v_mul_hi_u32 v9, v4, v10
	v_mul_lo_u32 v11, v4, v8
	v_mul_hi_u32 v13, v4, v8
	v_mul_hi_u32 v12, v7, v10
	v_mul_lo_u32 v10, v7, v10
	v_mul_hi_u32 v14, v7, v8
	v_add_co_u32_e32 v9, vcc, v9, v11
	v_addc_co_u32_e32 v11, vcc, 0, v13, vcc
	v_mul_lo_u32 v8, v7, v8
	v_add_co_u32_e32 v9, vcc, v9, v10
	v_addc_co_u32_e32 v9, vcc, v11, v12, vcc
	v_addc_co_u32_e32 v10, vcc, 0, v14, vcc
	v_add_co_u32_e32 v8, vcc, v9, v8
	v_addc_co_u32_e32 v9, vcc, 0, v10, vcc
	v_add_co_u32_e32 v4, vcc, v4, v8
	v_addc_co_u32_e32 v7, vcc, v7, v9, vcc
	v_mul_lo_u32 v8, s0, v7
	v_mul_hi_u32 v9, s0, v4
	v_mul_lo_u32 v10, s1, v4
	v_mul_lo_u32 v11, s0, v4
	v_add_u32_e32 v8, v9, v8
	v_add_u32_e32 v8, v8, v10
	v_mul_lo_u32 v12, v4, v8
	v_mul_hi_u32 v13, v4, v11
	v_mul_hi_u32 v14, v4, v8
	;; [unrolled: 1-line block ×3, first 2 shown]
	v_mul_lo_u32 v11, v7, v11
	v_mul_hi_u32 v9, v7, v8
	v_add_co_u32_e32 v12, vcc, v13, v12
	v_addc_co_u32_e32 v13, vcc, 0, v14, vcc
	v_mul_lo_u32 v8, v7, v8
	v_add_co_u32_e32 v11, vcc, v12, v11
	v_addc_co_u32_e32 v10, vcc, v13, v10, vcc
	v_addc_co_u32_e32 v9, vcc, 0, v9, vcc
	v_add_co_u32_e32 v8, vcc, v10, v8
	v_addc_co_u32_e32 v9, vcc, 0, v9, vcc
	v_add_co_u32_e32 v4, vcc, v4, v8
	v_addc_co_u32_e32 v9, vcc, v7, v9, vcc
	v_mad_u64_u32 v[7:8], s[0:1], v5, v9, 0
	v_mul_hi_u32 v10, v5, v4
	v_add_co_u32_e32 v11, vcc, v10, v7
	v_addc_co_u32_e32 v12, vcc, 0, v8, vcc
	v_mad_u64_u32 v[7:8], s[0:1], v6, v4, 0
	v_mad_u64_u32 v[9:10], s[0:1], v6, v9, 0
	v_add_co_u32_e32 v4, vcc, v11, v7
	v_addc_co_u32_e32 v4, vcc, v12, v8, vcc
	v_addc_co_u32_e32 v7, vcc, 0, v10, vcc
	v_add_co_u32_e32 v4, vcc, v4, v9
	v_addc_co_u32_e32 v9, vcc, 0, v7, vcc
	v_mul_lo_u32 v10, s19, v4
	v_mul_lo_u32 v11, s18, v9
	v_mad_u64_u32 v[7:8], s[0:1], s18, v4, 0
	v_add3_u32 v8, v8, v11, v10
	v_sub_u32_e32 v10, v6, v8
	v_mov_b32_e32 v11, s19
	v_sub_co_u32_e32 v7, vcc, v5, v7
	v_subb_co_u32_e64 v10, s[0:1], v10, v11, vcc
	v_subrev_co_u32_e64 v11, s[0:1], s18, v7
	v_subbrev_co_u32_e64 v10, s[0:1], 0, v10, s[0:1]
	v_cmp_le_u32_e64 s[0:1], s19, v10
	v_cndmask_b32_e64 v12, 0, -1, s[0:1]
	v_cmp_le_u32_e64 s[0:1], s18, v11
	v_cndmask_b32_e64 v11, 0, -1, s[0:1]
	v_cmp_eq_u32_e64 s[0:1], s19, v10
	v_cndmask_b32_e64 v10, v12, v11, s[0:1]
	v_add_co_u32_e64 v11, s[0:1], 2, v4
	v_addc_co_u32_e64 v12, s[0:1], 0, v9, s[0:1]
	v_add_co_u32_e64 v13, s[0:1], 1, v4
	v_addc_co_u32_e64 v14, s[0:1], 0, v9, s[0:1]
	v_subb_co_u32_e32 v8, vcc, v6, v8, vcc
	v_cmp_ne_u32_e64 s[0:1], 0, v10
	v_cmp_le_u32_e32 vcc, s19, v8
	v_cndmask_b32_e64 v10, v14, v12, s[0:1]
	v_cndmask_b32_e64 v12, 0, -1, vcc
	v_cmp_le_u32_e32 vcc, s18, v7
	v_cndmask_b32_e64 v7, 0, -1, vcc
	v_cmp_eq_u32_e32 vcc, s19, v8
	v_cndmask_b32_e32 v7, v12, v7, vcc
	v_cmp_ne_u32_e32 vcc, 0, v7
	v_cndmask_b32_e64 v7, v13, v11, s[0:1]
	v_cndmask_b32_e32 v8, v9, v10, vcc
	v_cndmask_b32_e32 v7, v4, v7, vcc
.LBB0_4:                                ;   in Loop: Header=BB0_2 Depth=1
	s_andn2_saveexec_b64 s[0:1], s[20:21]
	s_cbranch_execz .LBB0_6
; %bb.5:                                ;   in Loop: Header=BB0_2 Depth=1
	v_cvt_f32_u32_e32 v4, s18
	s_sub_i32 s20, 0, s18
	v_rcp_iflag_f32_e32 v4, v4
	v_mul_f32_e32 v4, 0x4f7ffffe, v4
	v_cvt_u32_f32_e32 v4, v4
	v_mul_lo_u32 v7, s20, v4
	v_mul_hi_u32 v7, v4, v7
	v_add_u32_e32 v4, v4, v7
	v_mul_hi_u32 v4, v5, v4
	v_mul_lo_u32 v7, v4, s18
	v_add_u32_e32 v8, 1, v4
	v_sub_u32_e32 v7, v5, v7
	v_subrev_u32_e32 v9, s18, v7
	v_cmp_le_u32_e32 vcc, s18, v7
	v_cndmask_b32_e32 v7, v7, v9, vcc
	v_cndmask_b32_e32 v4, v4, v8, vcc
	v_add_u32_e32 v8, 1, v4
	v_cmp_le_u32_e32 vcc, s18, v7
	v_cndmask_b32_e32 v7, v4, v8, vcc
	v_mov_b32_e32 v8, v3
.LBB0_6:                                ;   in Loop: Header=BB0_2 Depth=1
	s_or_b64 exec, exec, s[0:1]
	v_mul_lo_u32 v4, v8, s18
	v_mul_lo_u32 v11, v7, s19
	v_mad_u64_u32 v[9:10], s[0:1], v7, s18, 0
	s_load_dwordx2 s[0:1], s[6:7], 0x0
	s_add_u32 s16, s16, 1
	v_add3_u32 v4, v10, v11, v4
	v_sub_co_u32_e32 v5, vcc, v5, v9
	v_subb_co_u32_e32 v4, vcc, v6, v4, vcc
	s_waitcnt lgkmcnt(0)
	v_mul_lo_u32 v4, s0, v4
	v_mul_lo_u32 v6, s1, v5
	v_mad_u64_u32 v[1:2], s[0:1], s0, v5, v[1:2]
	s_addc_u32 s17, s17, 0
	s_add_u32 s6, s6, 8
	v_add3_u32 v2, v6, v2, v4
	v_mov_b32_e32 v4, s10
	v_mov_b32_e32 v5, s11
	s_addc_u32 s7, s7, 0
	v_cmp_ge_u64_e32 vcc, s[16:17], v[4:5]
	s_add_u32 s14, s14, 8
	s_addc_u32 s15, s15, 0
	s_cbranch_vccnz .LBB0_9
; %bb.7:                                ;   in Loop: Header=BB0_2 Depth=1
	v_mov_b32_e32 v5, v7
	v_mov_b32_e32 v6, v8
	s_branch .LBB0_2
.LBB0_8:
	v_mov_b32_e32 v8, v6
	v_mov_b32_e32 v7, v5
.LBB0_9:
	s_lshl_b64 s[0:1], s[10:11], 3
	s_add_u32 s0, s12, s0
	s_addc_u32 s1, s13, s1
	s_load_dwordx2 s[6:7], s[0:1], 0x0
	s_load_dwordx2 s[10:11], s[4:5], 0x20
	s_waitcnt lgkmcnt(0)
	v_mad_u64_u32 v[1:2], s[0:1], s6, v7, v[1:2]
	v_mul_lo_u32 v3, s6, v8
	v_mul_lo_u32 v4, s7, v7
	s_mov_b32 s0, 0x4924925
	v_mul_hi_u32 v5, v0, s0
	v_cmp_gt_u64_e64 s[0:1], s[10:11], v[7:8]
	v_add3_u32 v2, v4, v2, v3
	v_lshlrev_b64 v[42:43], 3, v[1:2]
	v_mul_u32_u24_e32 v3, 56, v5
	v_sub_u32_e32 v40, v0, v3
	s_and_saveexec_b64 s[4:5], s[0:1]
	s_cbranch_execz .LBB0_13
; %bb.10:
	v_mov_b32_e32 v41, 0
	v_mov_b32_e32 v0, s3
	v_add_co_u32_e32 v1, vcc, s2, v42
	v_lshlrev_b64 v[2:3], 3, v[40:41]
	v_addc_co_u32_e32 v0, vcc, v0, v43, vcc
	v_add_co_u32_e32 v2, vcc, v1, v2
	v_addc_co_u32_e32 v3, vcc, v0, v3, vcc
	s_movk_i32 s6, 0x1000
	v_add_co_u32_e32 v20, vcc, s6, v2
	global_load_dwordx2 v[4:5], v[2:3], off
	global_load_dwordx2 v[6:7], v[2:3], off offset:448
	global_load_dwordx2 v[8:9], v[2:3], off offset:896
	;; [unrolled: 1-line block ×7, first 2 shown]
	v_addc_co_u32_e32 v21, vcc, 0, v3, vcc
	global_load_dwordx2 v[22:23], v[2:3], off offset:3584
	global_load_dwordx2 v[24:25], v[2:3], off offset:4032
	;; [unrolled: 1-line block ×7, first 2 shown]
	v_lshl_add_u32 v2, v40, 3, 0
	v_cmp_eq_u32_e32 vcc, 55, v40
	v_add_u32_e32 v3, 0x400, v2
	v_add_u32_e32 v20, 0x800, v2
	;; [unrolled: 1-line block ×3, first 2 shown]
	s_waitcnt vmcnt(13)
	ds_write2_b64 v2, v[4:5], v[6:7] offset1:56
	s_waitcnt vmcnt(11)
	ds_write2_b64 v2, v[8:9], v[10:11] offset0:112 offset1:168
	s_waitcnt vmcnt(9)
	ds_write2_b64 v3, v[12:13], v[14:15] offset0:96 offset1:152
	;; [unrolled: 2-line block ×6, first 2 shown]
	s_waitcnt vmcnt(0)
	ds_write_b64 v2, v[34:35] offset:6272
	s_and_saveexec_b64 s[6:7], vcc
	s_cbranch_execz .LBB0_12
; %bb.11:
	v_add_co_u32_e32 v1, vcc, 0x1000, v1
	v_addc_co_u32_e32 v2, vcc, 0, v0, vcc
	global_load_dwordx2 v[0:1], v[1:2], off offset:2624
	v_mov_b32_e32 v40, 55
	s_waitcnt vmcnt(0)
	ds_write_b64 v41, v[0:1] offset:6720
.LBB0_12:
	s_or_b64 exec, exec, s[6:7]
.LBB0_13:
	s_or_b64 exec, exec, s[4:5]
	v_lshlrev_b32_e32 v0, 3, v40
	v_add_u32_e32 v46, 0, v0
	s_waitcnt lgkmcnt(0)
	; wave barrier
	s_waitcnt lgkmcnt(0)
	v_sub_u32_e32 v4, 0, v0
	ds_read_b32 v5, v46
	ds_read_b32 v6, v4 offset:6720
	s_add_u32 s6, s8, 0x1a30
	s_addc_u32 s7, s9, 0
	v_cmp_ne_u32_e32 vcc, 0, v40
                                        ; implicit-def: $vgpr0_vgpr1
	s_waitcnt lgkmcnt(0)
	v_add_f32_e32 v2, v6, v5
	v_sub_f32_e32 v3, v5, v6
	s_and_saveexec_b64 s[4:5], vcc
	s_xor_b64 s[4:5], exec, s[4:5]
	s_cbranch_execz .LBB0_15
; %bb.14:
	v_mov_b32_e32 v41, 0
	v_lshlrev_b64 v[0:1], 3, v[40:41]
	v_mov_b32_e32 v2, s7
	v_add_co_u32_e32 v0, vcc, s6, v0
	v_addc_co_u32_e32 v1, vcc, v2, v1, vcc
	global_load_dwordx2 v[0:1], v[0:1], off
	ds_read_b32 v2, v4 offset:6724
	ds_read_b32 v3, v46 offset:4
	v_add_f32_e32 v7, v6, v5
	v_sub_f32_e32 v8, v5, v6
	s_waitcnt lgkmcnt(0)
	v_add_f32_e32 v9, v2, v3
	v_sub_f32_e32 v2, v3, v2
	s_waitcnt vmcnt(0)
	v_fma_f32 v10, v8, v1, v7
	v_fma_f32 v3, v9, v1, v2
	v_fma_f32 v5, -v8, v1, v7
	v_fma_f32 v6, v9, v1, -v2
	v_fma_f32 v2, -v0, v9, v10
	v_fmac_f32_e32 v3, v8, v0
	v_fmac_f32_e32 v5, v0, v9
	;; [unrolled: 1-line block ×3, first 2 shown]
	v_mov_b32_e32 v0, v40
	ds_write_b64 v4, v[5:6] offset:6720
	v_mov_b32_e32 v1, v41
.LBB0_15:
	s_andn2_saveexec_b64 s[4:5], s[4:5]
	s_cbranch_execz .LBB0_17
; %bb.16:
	v_mov_b32_e32 v7, 0
	ds_read_b64 v[0:1], v7 offset:3360
	s_waitcnt lgkmcnt(0)
	v_add_f32_e32 v5, v0, v0
	v_mul_f32_e32 v6, -2.0, v1
	v_mov_b32_e32 v0, 0
	v_mov_b32_e32 v1, 0
	ds_write_b64 v7, v[5:6] offset:3360
.LBB0_17:
	s_or_b64 exec, exec, s[4:5]
	v_lshlrev_b64 v[0:1], 3, v[0:1]
	v_mov_b32_e32 v5, s7
	v_add_co_u32_e32 v0, vcc, s6, v0
	v_addc_co_u32_e32 v1, vcc, v5, v1, vcc
	global_load_dwordx2 v[5:6], v[0:1], off offset:448
	global_load_dwordx2 v[7:8], v[0:1], off offset:896
	;; [unrolled: 1-line block ×4, first 2 shown]
	ds_write_b64 v46, v[2:3]
	ds_read_b64 v[2:3], v46 offset:448
	ds_read_b64 v[13:14], v4 offset:6272
	global_load_dwordx2 v[15:16], v[0:1], off offset:2240
	v_cmp_gt_u32_e32 vcc, 28, v40
	s_waitcnt lgkmcnt(0)
	v_add_f32_e32 v17, v2, v13
	v_add_f32_e32 v18, v14, v3
	v_sub_f32_e32 v19, v2, v13
	v_sub_f32_e32 v13, v3, v14
	s_waitcnt vmcnt(4)
	v_fma_f32 v20, v19, v6, v17
	v_fma_f32 v14, v18, v6, v13
	v_fma_f32 v2, -v19, v6, v17
	v_fma_f32 v3, v18, v6, -v13
	v_fma_f32 v13, -v5, v18, v20
	v_fmac_f32_e32 v14, v19, v5
	v_fmac_f32_e32 v2, v5, v18
	;; [unrolled: 1-line block ×3, first 2 shown]
	ds_write_b64 v46, v[13:14] offset:448
	ds_write_b64 v4, v[2:3] offset:6272
	ds_read_b64 v[2:3], v46 offset:896
	ds_read_b64 v[5:6], v4 offset:5824
	global_load_dwordx2 v[13:14], v[0:1], off offset:2688
	s_waitcnt lgkmcnt(0)
	v_add_f32_e32 v17, v2, v5
	v_add_f32_e32 v18, v6, v3
	v_sub_f32_e32 v19, v2, v5
	v_sub_f32_e32 v2, v3, v6
	s_waitcnt vmcnt(4)
	v_fma_f32 v20, v19, v8, v17
	v_fma_f32 v3, v18, v8, v2
	v_fma_f32 v5, -v19, v8, v17
	v_fma_f32 v6, v18, v8, -v2
	v_fma_f32 v2, -v7, v18, v20
	v_fmac_f32_e32 v3, v19, v7
	v_fmac_f32_e32 v5, v7, v18
	v_fmac_f32_e32 v6, v19, v7
	ds_write_b64 v46, v[2:3] offset:896
	ds_write_b64 v4, v[5:6] offset:5824
	ds_read_b64 v[2:3], v46 offset:1344
	ds_read_b64 v[5:6], v4 offset:5376
	s_waitcnt lgkmcnt(0)
	v_add_f32_e32 v7, v2, v5
	v_add_f32_e32 v8, v6, v3
	v_sub_f32_e32 v17, v2, v5
	v_sub_f32_e32 v2, v3, v6
	s_waitcnt vmcnt(3)
	v_fma_f32 v18, v17, v10, v7
	v_fma_f32 v3, v8, v10, v2
	v_fma_f32 v5, -v17, v10, v7
	v_fma_f32 v6, v8, v10, -v2
	v_fma_f32 v2, -v9, v8, v18
	v_fmac_f32_e32 v3, v17, v9
	v_fmac_f32_e32 v5, v9, v8
	v_fmac_f32_e32 v6, v17, v9
	ds_write_b64 v46, v[2:3] offset:1344
	ds_write_b64 v4, v[5:6] offset:5376
	ds_read_b64 v[2:3], v46 offset:1792
	ds_read_b64 v[5:6], v4 offset:4928
	;; [unrolled: 18-line block ×4, first 2 shown]
	s_waitcnt lgkmcnt(0)
	v_add_f32_e32 v7, v2, v5
	v_add_f32_e32 v8, v6, v3
	v_sub_f32_e32 v9, v2, v5
	v_sub_f32_e32 v2, v3, v6
	s_waitcnt vmcnt(0)
	v_fma_f32 v10, v9, v14, v7
	v_fma_f32 v3, v8, v14, v2
	v_fma_f32 v5, -v9, v14, v7
	v_fma_f32 v6, v8, v14, -v2
	v_fma_f32 v2, -v13, v8, v10
	v_fmac_f32_e32 v3, v9, v13
	v_fmac_f32_e32 v5, v13, v8
	v_fmac_f32_e32 v6, v9, v13
	ds_write_b64 v46, v[2:3] offset:2688
	ds_write_b64 v4, v[5:6] offset:4032
	s_and_saveexec_b64 s[4:5], vcc
	s_cbranch_execz .LBB0_19
; %bb.18:
	global_load_dwordx2 v[0:1], v[0:1], off offset:3136
	ds_read_b64 v[2:3], v46 offset:3136
	ds_read_b64 v[5:6], v4 offset:3584
	s_waitcnt lgkmcnt(0)
	v_add_f32_e32 v7, v2, v5
	v_add_f32_e32 v8, v6, v3
	v_sub_f32_e32 v9, v2, v5
	v_sub_f32_e32 v3, v3, v6
	s_waitcnt vmcnt(0)
	v_fma_f32 v10, v9, v1, v7
	v_fma_f32 v2, v8, v1, v3
	v_fma_f32 v5, -v9, v1, v7
	v_fma_f32 v6, v8, v1, -v3
	v_fma_f32 v1, -v0, v8, v10
	v_fmac_f32_e32 v2, v9, v0
	v_fmac_f32_e32 v5, v0, v8
	;; [unrolled: 1-line block ×3, first 2 shown]
	ds_write_b64 v46, v[1:2] offset:3136
	ds_write_b64 v4, v[5:6] offset:3584
.LBB0_19:
	s_or_b64 exec, exec, s[4:5]
	v_add_u32_e32 v0, 0x800, v46
	s_waitcnt lgkmcnt(0)
	; wave barrier
	s_waitcnt lgkmcnt(0)
	s_waitcnt lgkmcnt(0)
	; wave barrier
	s_waitcnt lgkmcnt(0)
	ds_read2_b64 v[1:4], v46 offset1:56
	ds_read2_b64 v[13:16], v0 offset0:164 offset1:220
	v_add_u32_e32 v7, 0x1400, v46
	v_add_u32_e32 v12, 0x1000, v46
	;; [unrolled: 1-line block ×3, first 2 shown]
	ds_read2_b64 v[17:20], v7 offset0:116 offset1:172
	ds_read2_b64 v[21:24], v46 offset0:112 offset1:168
	;; [unrolled: 1-line block ×6, first 2 shown]
	s_waitcnt lgkmcnt(6)
	v_sub_f32_e32 v5, v1, v13
	v_sub_f32_e32 v6, v2, v14
	v_fma_f32 v1, v1, 2.0, -v5
	v_fma_f32 v2, v2, 2.0, -v6
	v_lshl_add_u32 v7, v40, 4, 0
	s_waitcnt lgkmcnt(0)
	; wave barrier
	s_waitcnt lgkmcnt(0)
	ds_write2_b64 v7, v[1:2], v[5:6] offset1:1
	v_sub_f32_e32 v1, v3, v15
	v_sub_f32_e32 v2, v4, v16
	v_add_u32_e32 v32, 56, v40
	v_fma_f32 v3, v3, 2.0, -v1
	v_fma_f32 v4, v4, 2.0, -v2
	v_lshl_add_u32 v5, v32, 4, 0
	ds_write2_b64 v5, v[3:4], v[1:2] offset1:1
	v_sub_f32_e32 v1, v21, v25
	v_sub_f32_e32 v2, v22, v26
	v_add_u32_e32 v41, 0x70, v40
	v_fma_f32 v3, v21, 2.0, -v1
	v_fma_f32 v4, v22, 2.0, -v2
	v_lshl_add_u32 v5, v41, 4, 0
	;; [unrolled: 7-line block ×5, first 2 shown]
	ds_write2_b64 v5, v[3:4], v[1:2] offset1:1
	v_sub_f32_e32 v1, v51, v17
	v_sub_f32_e32 v2, v52, v18
	v_add_u32_e32 v48, 0x150, v40
	v_sub_f32_e32 v30, v53, v19
	v_sub_f32_e32 v31, v54, v20
	v_fma_f32 v3, v51, 2.0, -v1
	v_fma_f32 v4, v52, 2.0, -v2
	v_lshl_add_u32 v5, v48, 4, 0
	v_fma_f32 v28, v53, 2.0, -v30
	v_fma_f32 v29, v54, 2.0, -v31
	v_add_u32_e32 v47, 0x188, v40
	ds_write2_b64 v5, v[3:4], v[1:2] offset1:1
	s_and_saveexec_b64 s[4:5], vcc
	s_cbranch_execz .LBB0_21
; %bb.20:
	v_lshl_add_u32 v1, v47, 4, 0
	ds_write2_b64 v1, v[28:29], v[30:31] offset1:1
.LBB0_21:
	s_or_b64 exec, exec, s[4:5]
	v_add_u32_e32 v9, 0xc00, v46
	s_waitcnt lgkmcnt(0)
	; wave barrier
	s_waitcnt lgkmcnt(0)
	ds_read2_b64 v[4:7], v46 offset1:56
	ds_read2_b64 v[0:3], v0 offset0:80 offset1:164
	ds_read2_b64 v[16:19], v9 offset0:92 offset1:148
	;; [unrolled: 1-line block ×6, first 2 shown]
	v_lshlrev_b32_e32 v44, 1, v40
	v_lshlrev_b32_e32 v39, 1, v32
	;; [unrolled: 1-line block ×7, first 2 shown]
	s_and_saveexec_b64 s[4:5], vcc
	s_cbranch_execz .LBB0_23
; %bb.22:
	ds_read_b64 v[28:29], v46 offset:3136
	ds_read_b64 v[30:31], v46 offset:6496
.LBB0_23:
	s_or_b64 exec, exec, s[4:5]
	v_and_b32_e32 v48, 1, v40
	v_lshlrev_b32_e32 v49, 3, v48
	global_load_dwordx2 v[49:50], v49, s[8:9]
	s_movk_i32 s4, 0x7c
	s_movk_i32 s5, 0xfc
	;; [unrolled: 1-line block ×4, first 2 shown]
	v_and_or_b32 v51, v44, s4, v48
	v_and_or_b32 v52, v39, s5, v48
	;; [unrolled: 1-line block ×5, first 2 shown]
	v_lshl_add_u32 v51, v51, 3, 0
	s_movk_i32 s4, 0x2fc
	s_waitcnt lgkmcnt(0)
	; wave barrier
	s_waitcnt lgkmcnt(0)
	v_lshl_add_u32 v52, v52, 3, 0
	v_lshl_add_u32 v53, v53, 3, 0
	v_lshl_add_u32 v54, v54, 3, 0
	v_lshl_add_u32 v55, v55, 3, 0
	v_lshlrev_b32_e32 v47, 1, v47
	s_waitcnt vmcnt(0)
	v_mul_f32_e32 v56, v50, v3
	v_mul_f32_e32 v57, v50, v2
	;; [unrolled: 1-line block ×10, first 2 shown]
	v_fma_f32 v2, v49, v2, -v56
	v_fmac_f32_e32 v57, v49, v3
	v_mul_f32_e32 v66, v50, v25
	v_mul_f32_e32 v67, v50, v24
	v_fma_f32 v16, v49, v16, -v58
	v_fmac_f32_e32 v59, v49, v17
	v_fma_f32 v18, v49, v18, -v60
	v_fmac_f32_e32 v61, v49, v19
	;; [unrolled: 2-line block ×4, first 2 shown]
	v_sub_f32_e32 v2, v4, v2
	v_sub_f32_e32 v3, v5, v57
	v_fma_f32 v24, v49, v24, -v66
	v_fmac_f32_e32 v67, v49, v25
	v_sub_f32_e32 v16, v6, v16
	v_sub_f32_e32 v17, v7, v59
	;; [unrolled: 1-line block ×8, first 2 shown]
	v_fma_f32 v4, v4, 2.0, -v2
	v_fma_f32 v5, v5, 2.0, -v3
	v_mul_f32_e32 v68, v50, v27
	v_mul_f32_e32 v69, v50, v26
	;; [unrolled: 1-line block ×4, first 2 shown]
	v_sub_f32_e32 v24, v10, v24
	v_sub_f32_e32 v25, v11, v67
	v_fma_f32 v6, v6, 2.0, -v16
	v_fma_f32 v7, v7, 2.0, -v17
	;; [unrolled: 1-line block ×8, first 2 shown]
	ds_write2_b64 v51, v[4:5], v[2:3] offset1:2
	ds_write2_b64 v52, v[6:7], v[16:17] offset1:2
	;; [unrolled: 1-line block ×5, first 2 shown]
	v_and_or_b32 v2, v36, s4, v48
	v_fma_f32 v26, v49, v26, -v68
	v_fmac_f32_e32 v69, v49, v27
	v_fma_f32 v30, v30, v49, -v70
	v_fmac_f32_e32 v50, v31, v49
	v_fma_f32 v10, v10, 2.0, -v24
	v_fma_f32 v11, v11, 2.0, -v25
	v_lshl_add_u32 v2, v2, 3, 0
	v_sub_f32_e32 v26, v0, v26
	v_sub_f32_e32 v27, v1, v69
	;; [unrolled: 1-line block ×4, first 2 shown]
	ds_write2_b64 v2, v[10:11], v[24:25] offset1:2
	v_and_or_b32 v2, v35, s7, v48
	v_fma_f32 v0, v0, 2.0, -v26
	v_fma_f32 v1, v1, 2.0, -v27
	;; [unrolled: 1-line block ×4, first 2 shown]
	v_lshl_add_u32 v2, v2, 3, 0
	ds_write2_b64 v2, v[0:1], v[26:27] offset1:2
	s_and_saveexec_b64 s[4:5], vcc
	s_cbranch_execz .LBB0_25
; %bb.24:
	s_movk_i32 s6, 0x37c
	v_and_or_b32 v0, v47, s6, v48
	v_lshl_add_u32 v0, v0, 3, 0
	ds_write2_b64 v0, v[28:29], v[30:31] offset1:2
.LBB0_25:
	s_or_b64 exec, exec, s[4:5]
	v_add_u32_e32 v0, 0x800, v46
	v_add_u32_e32 v8, 0xc00, v46
	;; [unrolled: 1-line block ×4, first 2 shown]
	s_waitcnt lgkmcnt(0)
	; wave barrier
	s_waitcnt lgkmcnt(0)
	ds_read2_b64 v[4:7], v46 offset1:56
	ds_read2_b64 v[0:3], v0 offset0:80 offset1:164
	ds_read2_b64 v[24:27], v8 offset0:92 offset1:148
	;; [unrolled: 1-line block ×6, first 2 shown]
	s_and_saveexec_b64 s[4:5], vcc
	s_cbranch_execz .LBB0_27
; %bb.26:
	ds_read_b64 v[28:29], v46 offset:3136
	ds_read_b64 v[30:31], v46 offset:6496
.LBB0_27:
	s_or_b64 exec, exec, s[4:5]
	v_and_b32_e32 v48, 3, v40
	v_lshlrev_b32_e32 v49, 3, v48
	global_load_dwordx2 v[49:50], v49, s[8:9] offset:16
	s_movk_i32 s4, 0x78
	v_and_or_b32 v44, v44, s4, v48
	v_lshl_add_u32 v44, v44, 3, 0
	s_movk_i32 s4, 0xf8
	s_waitcnt lgkmcnt(0)
	; wave barrier
	s_waitcnt lgkmcnt(0)
	s_movk_i32 s5, 0x2f8
	s_waitcnt vmcnt(0)
	v_mul_f32_e32 v51, v50, v3
	v_fma_f32 v51, v49, v2, -v51
	v_mul_f32_e32 v2, v50, v2
	v_fmac_f32_e32 v2, v49, v3
	v_mul_f32_e32 v3, v50, v25
	v_fma_f32 v3, v49, v24, -v3
	v_mul_f32_e32 v24, v50, v24
	v_fmac_f32_e32 v24, v49, v25
	;; [unrolled: 4-line block ×3, first 2 shown]
	v_mul_f32_e32 v27, v50, v21
	v_fma_f32 v27, v49, v20, -v27
	v_mul_f32_e32 v52, v50, v20
	v_mul_f32_e32 v20, v50, v23
	v_fma_f32 v53, v49, v22, -v20
	v_mul_f32_e32 v20, v50, v17
	v_fma_f32 v55, v49, v16, -v20
	v_mul_f32_e32 v56, v50, v16
	v_mul_f32_e32 v16, v50, v19
	v_fma_f32 v57, v49, v18, -v16
	v_mul_f32_e32 v16, v31, v50
	v_fmac_f32_e32 v56, v49, v17
	v_fma_f32 v59, v30, v49, -v16
	v_sub_f32_e32 v16, v4, v51
	v_sub_f32_e32 v17, v5, v2
	v_mul_f32_e32 v58, v50, v18
	v_fma_f32 v4, v4, 2.0, -v16
	v_fma_f32 v5, v5, 2.0, -v17
	v_fmac_f32_e32 v58, v49, v19
	v_sub_f32_e32 v18, v6, v3
	v_sub_f32_e32 v19, v7, v24
	ds_write2_b64 v44, v[4:5], v[16:17] offset1:4
	v_and_or_b32 v4, v39, s4, v48
	v_fma_f32 v6, v6, 2.0, -v18
	v_fma_f32 v7, v7, 2.0, -v19
	v_lshl_add_u32 v4, v4, 3, 0
	s_movk_i32 s4, 0x1f8
	v_fmac_f32_e32 v52, v49, v21
	v_sub_f32_e32 v20, v8, v25
	v_sub_f32_e32 v21, v9, v26
	ds_write2_b64 v4, v[6:7], v[18:19] offset1:4
	v_and_or_b32 v4, v37, s4, v48
	v_mul_f32_e32 v54, v50, v22
	v_fma_f32 v8, v8, 2.0, -v20
	v_fma_f32 v9, v9, 2.0, -v21
	v_lshl_add_u32 v4, v4, 3, 0
	v_fmac_f32_e32 v54, v49, v23
	v_sub_f32_e32 v22, v10, v27
	v_sub_f32_e32 v23, v11, v52
	ds_write2_b64 v4, v[8:9], v[20:21] offset1:4
	v_and_or_b32 v4, v45, s4, v48
	v_fma_f32 v10, v10, 2.0, -v22
	v_fma_f32 v11, v11, 2.0, -v23
	v_lshl_add_u32 v4, v4, 3, 0
	s_movk_i32 s4, 0x3f8
	v_sub_f32_e32 v24, v12, v53
	v_sub_f32_e32 v25, v13, v54
	ds_write2_b64 v4, v[10:11], v[22:23] offset1:4
	v_and_or_b32 v4, v38, s4, v48
	v_fma_f32 v12, v12, 2.0, -v24
	v_fma_f32 v13, v13, 2.0, -v25
	v_lshl_add_u32 v4, v4, 3, 0
	v_sub_f32_e32 v26, v14, v55
	v_sub_f32_e32 v27, v15, v56
	ds_write2_b64 v4, v[12:13], v[24:25] offset1:4
	v_and_or_b32 v4, v36, s5, v48
	v_mul_f32_e32 v50, v30, v50
	v_fma_f32 v14, v14, 2.0, -v26
	v_fma_f32 v15, v15, 2.0, -v27
	v_lshl_add_u32 v4, v4, 3, 0
	v_fmac_f32_e32 v50, v31, v49
	v_sub_f32_e32 v30, v0, v57
	v_sub_f32_e32 v31, v1, v58
	ds_write2_b64 v4, v[14:15], v[26:27] offset1:4
	v_and_or_b32 v4, v35, s4, v48
	v_fma_f32 v0, v0, 2.0, -v30
	v_fma_f32 v1, v1, 2.0, -v31
	v_sub_f32_e32 v2, v28, v59
	v_sub_f32_e32 v3, v29, v50
	v_lshl_add_u32 v4, v4, 3, 0
	ds_write2_b64 v4, v[0:1], v[30:31] offset1:4
	s_and_saveexec_b64 s[4:5], vcc
	s_cbranch_execz .LBB0_29
; %bb.28:
	s_movk_i32 s6, 0x378
	v_and_or_b32 v0, v47, s6, v48
	v_lshl_add_u32 v4, v0, 3, 0
	v_fma_f32 v1, v29, 2.0, -v3
	v_fma_f32 v0, v28, 2.0, -v2
	ds_write2_b64 v4, v[0:1], v[2:3] offset1:4
.LBB0_29:
	s_or_b64 exec, exec, s[4:5]
	v_and_b32_e32 v39, 7, v40
	v_lshlrev_b32_e32 v0, 4, v39
	s_waitcnt lgkmcnt(0)
	; wave barrier
	s_waitcnt lgkmcnt(0)
	global_load_dwordx4 v[4:7], v0, s[8:9] offset:48
	ds_read2_b64 v[8:11], v46 offset1:56
	v_add_u32_e32 v49, 0x400, v46
	v_add_u32_e32 v47, 0x1000, v46
	;; [unrolled: 1-line block ×3, first 2 shown]
	ds_read2_b64 v[12:15], v46 offset0:112 offset1:168
	ds_read_b64 v[0:1], v46 offset:6272
	ds_read2_b64 v[16:19], v49 offset0:96 offset1:152
	ds_read2_b64 v[20:23], v47 offset0:48 offset1:104
	;; [unrolled: 1-line block ×5, first 2 shown]
	s_waitcnt lgkmcnt(0)
	; wave barrier
	s_waitcnt lgkmcnt(0)
	s_movk_i32 s4, 0xab
	v_cmp_gt_u32_e32 vcc, 8, v40
	s_waitcnt vmcnt(0)
	v_mul_f32_e32 v53, v5, v24
	v_mul_f32_e32 v55, v7, v22
	;; [unrolled: 1-line block ×8, first 2 shown]
	v_fmac_f32_e32 v55, v6, v23
	v_fmac_f32_e32 v53, v4, v25
	v_mul_f32_e32 v44, v5, v19
	v_mul_f32_e32 v45, v5, v18
	;; [unrolled: 1-line block ×12, first 2 shown]
	v_fma_f32 v7, v6, v20, -v50
	v_fmac_f32_e32 v51, v6, v21
	v_fma_f32 v20, v6, v22, -v54
	v_fma_f32 v21, v4, v24, -v52
	v_fmac_f32_e32 v57, v4, v27
	v_fma_f32 v27, v30, v6, -v62
	v_add_f32_e32 v30, v53, v55
	v_fmac_f32_e32 v59, v6, v29
	v_fma_f32 v18, v4, v18, -v44
	v_fmac_f32_e32 v45, v4, v19
	v_add_f32_e32 v19, v21, v20
	v_add_f32_e32 v29, v11, v53
	v_fmac_f32_e32 v11, -0.5, v30
	v_fma_f32 v23, v4, v26, -v56
	v_fma_f32 v24, v6, v28, -v58
	v_fmac_f32_e32 v63, v31, v6
	v_fma_f32 v28, v35, v4, -v60
	v_fma_f32 v35, v0, v6, -v5
	v_fmac_f32_e32 v66, v1, v6
	v_add_f32_e32 v0, v8, v18
	v_add_f32_e32 v1, v18, v7
	;; [unrolled: 1-line block ×4, first 2 shown]
	v_sub_f32_e32 v25, v18, v7
	v_add_f32_e32 v18, v10, v21
	v_sub_f32_e32 v21, v21, v20
	v_fma_f32 v10, -0.5, v19, v10
	v_mov_b32_e32 v19, v11
	v_fmac_f32_e32 v61, v36, v4
	v_fma_f32 v31, v37, v4, -v64
	v_fmac_f32_e32 v65, v38, v4
	v_fma_f32 v4, -0.5, v1, v8
	v_add_f32_e32 v1, v5, v51
	v_fma_f32 v5, -0.5, v6, v9
	v_fmac_f32_e32 v11, 0x3f5db3d7, v21
	v_fmac_f32_e32 v19, 0xbf5db3d7, v21
	v_add_f32_e32 v21, v23, v24
	v_sub_f32_e32 v22, v45, v51
	v_add_f32_e32 v6, v18, v20
	v_mov_b32_e32 v8, v4
	v_mov_b32_e32 v9, v5
	v_add_f32_e32 v20, v12, v23
	v_fma_f32 v12, -0.5, v21, v12
	v_fmac_f32_e32 v4, 0xbf5db3d7, v22
	v_fmac_f32_e32 v5, 0x3f5db3d7, v25
	;; [unrolled: 1-line block ×4, first 2 shown]
	v_sub_f32_e32 v21, v57, v59
	v_mov_b32_e32 v22, v12
	v_add_f32_e32 v25, v57, v59
	v_fmac_f32_e32 v22, 0x3f5db3d7, v21
	v_fmac_f32_e32 v12, 0xbf5db3d7, v21
	v_add_f32_e32 v21, v13, v57
	v_fma_f32 v13, -0.5, v25, v13
	v_add_f32_e32 v20, v20, v24
	v_sub_f32_e32 v24, v23, v24
	v_mov_b32_e32 v23, v13
	v_add_f32_e32 v25, v28, v27
	v_sub_f32_e32 v26, v53, v55
	v_mov_b32_e32 v18, v10
	v_fmac_f32_e32 v23, 0xbf5db3d7, v24
	v_fmac_f32_e32 v13, 0x3f5db3d7, v24
	v_add_f32_e32 v24, v14, v28
	v_fma_f32 v14, -0.5, v25, v14
	v_add_f32_e32 v0, v0, v7
	v_add_f32_e32 v7, v29, v55
	v_fmac_f32_e32 v10, 0xbf5db3d7, v26
	v_fmac_f32_e32 v18, 0x3f5db3d7, v26
	v_sub_f32_e32 v25, v61, v63
	v_mov_b32_e32 v26, v14
	v_add_f32_e32 v29, v61, v63
	v_fmac_f32_e32 v26, 0x3f5db3d7, v25
	v_fmac_f32_e32 v14, 0xbf5db3d7, v25
	v_add_f32_e32 v25, v15, v61
	v_fmac_f32_e32 v15, -0.5, v29
	v_add_f32_e32 v24, v24, v27
	v_sub_f32_e32 v28, v28, v27
	v_mov_b32_e32 v27, v15
	v_add_f32_e32 v29, v31, v35
	v_fmac_f32_e32 v27, 0xbf5db3d7, v28
	v_fmac_f32_e32 v15, 0x3f5db3d7, v28
	v_add_f32_e32 v28, v16, v31
	v_fma_f32 v16, -0.5, v29, v16
	v_sub_f32_e32 v29, v65, v66
	v_mov_b32_e32 v30, v16
	v_add_f32_e32 v36, v65, v66
	v_fmac_f32_e32 v30, 0x3f5db3d7, v29
	v_fmac_f32_e32 v16, 0xbf5db3d7, v29
	v_add_f32_e32 v29, v17, v65
	v_fmac_f32_e32 v17, -0.5, v36
	v_add_f32_e32 v28, v28, v35
	v_sub_f32_e32 v35, v31, v35
	v_mov_b32_e32 v31, v17
	v_fmac_f32_e32 v31, 0xbf5db3d7, v35
	v_fmac_f32_e32 v17, 0x3f5db3d7, v35
	v_lshrrev_b32_e32 v35, 3, v40
	v_mul_u32_u24_e32 v35, 24, v35
	v_or_b32_e32 v35, v35, v39
	v_lshl_add_u32 v35, v35, 3, 0
	ds_write2_b64 v35, v[0:1], v[8:9] offset1:8
	ds_write_b64 v35, v[4:5] offset:128
	v_lshrrev_b32_e32 v0, 3, v32
	v_mul_u32_u24_e32 v0, 24, v0
	v_or_b32_e32 v0, v0, v39
	v_lshl_add_u32 v0, v0, 3, 0
	ds_write2_b64 v0, v[6:7], v[18:19] offset1:8
	ds_write_b64 v0, v[10:11] offset:128
	v_lshrrev_b32_e32 v0, 3, v41
	v_mul_u32_u24_e32 v0, 24, v0
	v_or_b32_e32 v0, v0, v39
	v_add_f32_e32 v21, v21, v59
	v_lshl_add_u32 v0, v0, 3, 0
	ds_write2_b64 v0, v[20:21], v[22:23] offset1:8
	ds_write_b64 v0, v[12:13] offset:128
	v_lshrrev_b32_e32 v0, 3, v34
	v_mul_u32_u24_e32 v0, 24, v0
	v_or_b32_e32 v0, v0, v39
	v_add_f32_e32 v25, v25, v63
	v_lshl_add_u32 v0, v0, 3, 0
	ds_write2_b64 v0, v[24:25], v[26:27] offset1:8
	ds_write_b64 v0, v[14:15] offset:128
	v_lshrrev_b32_e32 v0, 3, v33
	v_mul_u32_u24_e32 v0, 24, v0
	v_mul_lo_u16_sdwa v1, v32, s4 dst_sel:DWORD dst_unused:UNUSED_PAD src0_sel:BYTE_0 src1_sel:DWORD
	v_or_b32_e32 v0, v0, v39
	v_lshrrev_b16_e32 v44, 12, v1
	v_add_f32_e32 v29, v29, v66
	v_lshl_add_u32 v0, v0, 3, 0
	v_mul_lo_u16_e32 v1, 24, v44
	ds_write2_b64 v0, v[28:29], v[30:31] offset1:8
	ds_write_b64 v0, v[16:17] offset:128
	v_mov_b32_e32 v0, 5
	v_sub_u16_e32 v45, v32, v1
	v_lshlrev_b32_sdwa v1, v0, v45 dst_sel:DWORD dst_unused:UNUSED_PAD src0_sel:DWORD src1_sel:BYTE_0
	v_mul_lo_u16_sdwa v8, v41, s4 dst_sel:DWORD dst_unused:UNUSED_PAD src0_sel:BYTE_0 src1_sel:DWORD
	s_waitcnt lgkmcnt(0)
	; wave barrier
	s_waitcnt lgkmcnt(0)
	global_load_dwordx4 v[4:7], v1, s[8:9] offset:176
	v_lshrrev_b16_e32 v52, 12, v8
	v_mul_lo_u16_e32 v8, 24, v52
	v_sub_u16_e32 v53, v41, v8
	v_lshlrev_b32_sdwa v28, v0, v53 dst_sel:DWORD dst_unused:UNUSED_PAD src0_sel:DWORD src1_sel:BYTE_0
	global_load_dwordx4 v[8:11], v28, s[8:9] offset:176
	v_mul_lo_u16_sdwa v12, v40, s4 dst_sel:DWORD dst_unused:UNUSED_PAD src0_sel:BYTE_0 src1_sel:DWORD
	v_lshrrev_b16_e32 v54, 12, v12
	v_mul_lo_u16_e32 v12, 24, v54
	v_sub_u16_e32 v55, v40, v12
	v_lshlrev_b32_sdwa v0, v0, v55 dst_sel:DWORD dst_unused:UNUSED_PAD src0_sel:DWORD src1_sel:BYTE_0
	global_load_dwordx4 v[12:15], v0, s[8:9] offset:176
	global_load_dwordx4 v[16:19], v0, s[8:9] offset:192
	;; [unrolled: 1-line block ×4, first 2 shown]
	ds_read2_b32 v[0:1], v49 offset0:192 offset1:193
	ds_read2_b64 v[28:31], v46 offset0:112 offset1:168
	ds_read2_b64 v[32:35], v48 offset0:24 offset1:80
	;; [unrolled: 1-line block ×3, first 2 shown]
	v_add_u32_e32 v50, 0xc00, v46
	s_waitcnt vmcnt(5) lgkmcnt(3)
	v_mul_f32_e32 v51, v1, v5
	v_fma_f32 v56, v4, v0, -v51
	v_mul_f32_e32 v0, v5, v0
	v_fmac_f32_e32 v0, v1, v4
	s_waitcnt lgkmcnt(0)
	v_mul_f32_e32 v1, v37, v7
	v_fma_f32 v1, v36, v6, -v1
	v_mul_f32_e32 v36, v36, v7
	v_fmac_f32_e32 v36, v37, v6
	s_waitcnt vmcnt(4)
	v_mul_f32_e32 v37, v39, v11
	v_fma_f32 v37, v38, v10, -v37
	v_mul_f32_e32 v38, v38, v11
	v_fmac_f32_e32 v38, v39, v10
	v_mul_f32_e32 v10, v33, v9
	ds_read2_b64 v[4:7], v50 offset0:120 offset1:176
	v_fma_f32 v39, v32, v8, -v10
	v_mul_f32_e32 v32, v32, v9
	v_fmac_f32_e32 v32, v33, v8
	ds_read2_b64 v[8:11], v47 offset0:104 offset1:160
	s_waitcnt vmcnt(3)
	v_mul_f32_e32 v33, v15, v35
	v_fma_f32 v33, v14, v34, -v33
	v_mul_f32_e32 v34, v15, v34
	v_fmac_f32_e32 v34, v14, v35
	v_mul_f32_e32 v14, v13, v31
	v_fma_f32 v15, v12, v30, -v14
	v_mul_f32_e32 v30, v13, v30
	v_fmac_f32_e32 v30, v12, v31
	s_waitcnt vmcnt(2) lgkmcnt(1)
	v_mul_f32_e32 v12, v17, v5
	v_add_u32_e32 v51, 0x1400, v46
	v_fma_f32 v31, v16, v4, -v12
	v_mul_f32_e32 v35, v17, v4
	s_waitcnt lgkmcnt(0)
	v_mul_f32_e32 v4, v19, v11
	v_mul_f32_e32 v19, v19, v10
	v_fma_f32 v57, v18, v10, -v4
	v_fmac_f32_e32 v19, v18, v11
	ds_read2_b64 v[10:13], v51 offset0:88 offset1:144
	s_waitcnt vmcnt(1)
	v_mul_f32_e32 v4, v7, v21
	v_fma_f32 v58, v6, v20, -v4
	v_mul_f32_e32 v59, v6, v21
	v_fmac_f32_e32 v35, v16, v5
	s_waitcnt lgkmcnt(0)
	v_mul_f32_e32 v4, v11, v23
	v_fma_f32 v21, v10, v22, -v4
	s_waitcnt vmcnt(0)
	v_mul_f32_e32 v4, v9, v25
	v_fmac_f32_e32 v59, v7, v20
	v_fma_f32 v61, v8, v24, -v4
	ds_read2_b64 v[4:7], v46 offset1:56
	v_mul_f32_e32 v62, v8, v25
	v_mul_f32_e32 v8, v13, v27
	v_fma_f32 v25, v12, v26, -v8
	v_add_f32_e32 v8, v33, v31
	s_waitcnt lgkmcnt(0)
	v_fma_f32 v8, -0.5, v8, v4
	v_mul_f32_e32 v60, v10, v23
	v_fmac_f32_e32 v62, v9, v24
	v_mul_f32_e32 v63, v12, v27
	v_sub_f32_e32 v9, v30, v19
	v_mov_b32_e32 v10, v8
	v_fmac_f32_e32 v60, v11, v22
	v_fmac_f32_e32 v63, v13, v26
	;; [unrolled: 1-line block ×3, first 2 shown]
	v_sub_f32_e32 v11, v34, v35
	v_sub_f32_e32 v12, v15, v33
	;; [unrolled: 1-line block ×3, first 2 shown]
	v_fmac_f32_e32 v8, 0xbf737871, v9
	v_fmac_f32_e32 v10, 0x3f167918, v11
	v_add_f32_e32 v12, v12, v13
	v_fmac_f32_e32 v8, 0xbf167918, v11
	v_fmac_f32_e32 v10, 0x3e9e377a, v12
	v_fmac_f32_e32 v8, 0x3e9e377a, v12
	v_add_f32_e32 v12, v15, v57
	v_sub_f32_e32 v13, v33, v15
	v_sub_f32_e32 v14, v31, v57
	v_fma_f32 v12, -0.5, v12, v4
	v_add_f32_e32 v13, v13, v14
	v_mov_b32_e32 v14, v12
	v_fmac_f32_e32 v14, 0xbf737871, v11
	v_fmac_f32_e32 v12, 0x3f737871, v11
	v_add_f32_e32 v4, v4, v15
	v_fmac_f32_e32 v14, 0x3f167918, v9
	v_fmac_f32_e32 v12, 0xbf167918, v9
	v_add_f32_e32 v4, v4, v33
	v_add_f32_e32 v9, v5, v30
	;; [unrolled: 1-line block ×7, first 2 shown]
	v_fmac_f32_e32 v14, 0x3e9e377a, v13
	v_fmac_f32_e32 v12, 0x3e9e377a, v13
	v_add_f32_e32 v17, v9, v19
	v_fma_f32 v9, -0.5, v4, v5
	v_sub_f32_e32 v11, v30, v34
	v_sub_f32_e32 v13, v19, v35
	;; [unrolled: 1-line block ×3, first 2 shown]
	v_add_f32_e32 v13, v11, v13
	v_mov_b32_e32 v11, v9
	v_sub_f32_e32 v18, v33, v31
	v_fmac_f32_e32 v11, 0xbf737871, v4
	v_fmac_f32_e32 v9, 0x3f737871, v4
	;; [unrolled: 1-line block ×6, first 2 shown]
	v_add_f32_e32 v13, v30, v19
	v_fma_f32 v13, -0.5, v13, v5
	v_mov_b32_e32 v15, v13
	v_fmac_f32_e32 v15, 0x3f737871, v18
	v_fmac_f32_e32 v13, 0xbf737871, v18
	;; [unrolled: 1-line block ×3, first 2 shown]
	v_sub_f32_e32 v5, v34, v30
	v_sub_f32_e32 v19, v35, v19
	v_fmac_f32_e32 v13, 0x3f167918, v4
	v_add_f32_e32 v4, v1, v58
	v_add_f32_e32 v5, v5, v19
	v_fma_f32 v4, -0.5, v4, v6
	v_fmac_f32_e32 v15, 0x3e9e377a, v5
	v_fmac_f32_e32 v13, 0x3e9e377a, v5
	v_sub_f32_e32 v5, v0, v60
	v_mov_b32_e32 v18, v4
	v_fmac_f32_e32 v18, 0x3f737871, v5
	v_sub_f32_e32 v19, v56, v1
	v_sub_f32_e32 v20, v21, v58
	;; [unrolled: 1-line block ×3, first 2 shown]
	v_fmac_f32_e32 v4, 0xbf737871, v5
	v_add_f32_e32 v19, v19, v20
	v_fmac_f32_e32 v18, 0x3f167918, v22
	v_fmac_f32_e32 v4, 0xbf167918, v22
	v_add_f32_e32 v20, v56, v21
	v_fmac_f32_e32 v18, 0x3e9e377a, v19
	v_fmac_f32_e32 v4, 0x3e9e377a, v19
	v_add_f32_e32 v19, v6, v56
	v_fma_f32 v6, -0.5, v20, v6
	v_sub_f32_e32 v20, v1, v56
	v_sub_f32_e32 v23, v58, v21
	v_add_f32_e32 v23, v20, v23
	v_mov_b32_e32 v20, v6
	v_fmac_f32_e32 v20, 0xbf737871, v22
	v_fmac_f32_e32 v6, 0x3f737871, v22
	;; [unrolled: 1-line block ×4, first 2 shown]
	v_add_f32_e32 v5, v19, v1
	v_add_f32_e32 v19, v7, v0
	;; [unrolled: 1-line block ×7, first 2 shown]
	v_fmac_f32_e32 v20, 0x3e9e377a, v23
	v_fmac_f32_e32 v6, 0x3e9e377a, v23
	v_add_f32_e32 v23, v19, v60
	v_fma_f32 v5, -0.5, v5, v7
	v_sub_f32_e32 v24, v56, v21
	v_sub_f32_e32 v19, v0, v36
	v_sub_f32_e32 v21, v60, v59
	v_add_f32_e32 v21, v19, v21
	v_mov_b32_e32 v19, v5
	v_sub_f32_e32 v1, v1, v58
	v_fmac_f32_e32 v19, 0xbf737871, v24
	v_fmac_f32_e32 v5, 0x3f737871, v24
	;; [unrolled: 1-line block ×6, first 2 shown]
	v_add_f32_e32 v21, v0, v60
	v_fmac_f32_e32 v7, -0.5, v21
	v_mov_b32_e32 v21, v7
	v_fmac_f32_e32 v21, 0x3f737871, v1
	v_sub_f32_e32 v0, v36, v0
	v_sub_f32_e32 v26, v59, v60
	v_fmac_f32_e32 v7, 0xbf737871, v1
	v_fmac_f32_e32 v21, 0xbf167918, v24
	v_add_f32_e32 v0, v0, v26
	v_fmac_f32_e32 v7, 0x3f167918, v24
	v_fmac_f32_e32 v21, 0x3e9e377a, v0
	;; [unrolled: 1-line block ×3, first 2 shown]
	v_add_f32_e32 v0, v37, v61
	v_fma_f32 v0, -0.5, v0, v28
	v_sub_f32_e32 v27, v32, v63
	v_mov_b32_e32 v24, v0
	v_fmac_f32_e32 v24, 0x3f737871, v27
	v_sub_f32_e32 v30, v38, v62
	v_sub_f32_e32 v26, v39, v37
	;; [unrolled: 1-line block ×3, first 2 shown]
	v_fmac_f32_e32 v0, 0xbf737871, v27
	v_fmac_f32_e32 v24, 0x3f167918, v30
	v_add_f32_e32 v26, v26, v31
	v_fmac_f32_e32 v0, 0xbf167918, v30
	v_add_f32_e32 v1, v28, v39
	v_fmac_f32_e32 v24, 0x3e9e377a, v26
	v_fmac_f32_e32 v0, 0x3e9e377a, v26
	v_add_f32_e32 v26, v39, v25
	v_fma_f32 v28, -0.5, v26, v28
	v_sub_f32_e32 v26, v37, v39
	v_sub_f32_e32 v31, v61, v25
	v_add_f32_e32 v1, v1, v37
	v_add_f32_e32 v31, v26, v31
	v_mov_b32_e32 v26, v28
	v_add_f32_e32 v1, v1, v61
	v_fmac_f32_e32 v26, 0xbf737871, v30
	v_fmac_f32_e32 v28, 0x3f737871, v30
	v_add_f32_e32 v30, v1, v25
	v_add_f32_e32 v1, v29, v32
	v_add_f32_e32 v1, v1, v38
	v_fmac_f32_e32 v26, 0x3f167918, v27
	v_fmac_f32_e32 v28, 0xbf167918, v27
	v_add_f32_e32 v1, v1, v62
	v_fmac_f32_e32 v26, 0x3e9e377a, v31
	v_fmac_f32_e32 v28, 0x3e9e377a, v31
	v_add_f32_e32 v31, v1, v63
	v_add_f32_e32 v1, v38, v62
	v_fma_f32 v1, -0.5, v1, v29
	v_sub_f32_e32 v33, v39, v25
	v_mov_b32_e32 v25, v1
	v_fmac_f32_e32 v25, 0xbf737871, v33
	v_sub_f32_e32 v34, v37, v61
	v_sub_f32_e32 v27, v32, v38
	;; [unrolled: 1-line block ×3, first 2 shown]
	v_fmac_f32_e32 v1, 0x3f737871, v33
	v_fmac_f32_e32 v25, 0xbf167918, v34
	v_add_f32_e32 v27, v27, v35
	v_fmac_f32_e32 v1, 0x3f167918, v34
	v_fmac_f32_e32 v25, 0x3e9e377a, v27
	;; [unrolled: 1-line block ×3, first 2 shown]
	v_add_f32_e32 v27, v32, v63
	v_fmac_f32_e32 v29, -0.5, v27
	v_mov_b32_e32 v27, v29
	v_fmac_f32_e32 v27, 0x3f737871, v34
	v_sub_f32_e32 v32, v38, v32
	v_sub_f32_e32 v35, v62, v63
	v_fmac_f32_e32 v29, 0xbf737871, v34
	v_fmac_f32_e32 v27, 0xbf167918, v33
	v_add_f32_e32 v32, v32, v35
	v_fmac_f32_e32 v29, 0x3f167918, v33
	v_mov_b32_e32 v33, 3
	v_fmac_f32_e32 v27, 0x3e9e377a, v32
	v_fmac_f32_e32 v29, 0x3e9e377a, v32
	v_mul_u32_u24_e32 v32, 0x3c0, v54
	v_lshlrev_b32_sdwa v34, v33, v55 dst_sel:DWORD dst_unused:UNUSED_PAD src0_sel:DWORD src1_sel:BYTE_0
	v_add3_u32 v32, 0, v32, v34
	s_waitcnt lgkmcnt(0)
	; wave barrier
	ds_write2_b64 v32, v[16:17], v[10:11] offset1:24
	ds_write2_b64 v32, v[14:15], v[12:13] offset0:48 offset1:72
	ds_write_b64 v32, v[8:9] offset:768
	v_mul_u32_u24_e32 v8, 0x3c0, v44
	v_lshlrev_b32_sdwa v9, v33, v45 dst_sel:DWORD dst_unused:UNUSED_PAD src0_sel:DWORD src1_sel:BYTE_0
	v_add3_u32 v8, 0, v8, v9
	ds_write2_b64 v8, v[22:23], v[18:19] offset1:24
	ds_write2_b64 v8, v[20:21], v[6:7] offset0:48 offset1:72
	ds_write_b64 v8, v[4:5] offset:768
	v_mul_u32_u24_e32 v4, 0x3c0, v52
	v_lshlrev_b32_sdwa v5, v33, v53 dst_sel:DWORD dst_unused:UNUSED_PAD src0_sel:DWORD src1_sel:BYTE_0
	v_add3_u32 v4, 0, v4, v5
	ds_write2_b64 v4, v[30:31], v[24:25] offset1:24
	ds_write2_b64 v4, v[26:27], v[28:29] offset0:48 offset1:72
	ds_write_b64 v4, v[0:1] offset:768
	s_waitcnt lgkmcnt(0)
	; wave barrier
	s_waitcnt lgkmcnt(0)
	ds_read2_b64 v[12:15], v46 offset1:56
	ds_read2_b64 v[36:39], v46 offset0:120 offset1:176
	ds_read2_b64 v[32:35], v49 offset0:112 offset1:168
	;; [unrolled: 1-line block ×6, first 2 shown]
                                        ; implicit-def: $vgpr5
                                        ; implicit-def: $vgpr9
                                        ; implicit-def: $vgpr45
	s_and_saveexec_b64 s[4:5], vcc
	s_cbranch_execz .LBB0_31
; %bb.30:
	ds_read2_b64 v[0:3], v46 offset0:112 offset1:232
	ds_read2_b64 v[4:7], v48 offset0:96 offset1:216
	;; [unrolled: 1-line block ×3, first 2 shown]
	ds_read_b64 v[44:45], v46 offset:6656
.LBB0_31:
	s_or_b64 exec, exec, s[4:5]
	v_mul_u32_u24_e32 v52, 6, v40
	v_lshlrev_b32_e32 v68, 3, v52
	global_load_dwordx4 v[52:55], v68, s[8:9] offset:944
	global_load_dwordx4 v[56:59], v68, s[8:9] offset:3632
	;; [unrolled: 1-line block ×4, first 2 shown]
	s_mov_b32 s6, 0x3f5ff5aa
	s_mov_b32 s7, 0x3f3bfb3b
	;; [unrolled: 1-line block ×4, first 2 shown]
	s_waitcnt vmcnt(3) lgkmcnt(4)
	v_mul_f32_e32 v71, v55, v32
	v_mul_f32_e32 v69, v53, v37
	;; [unrolled: 1-line block ×4, first 2 shown]
	v_fmac_f32_e32 v71, v54, v33
	s_waitcnt vmcnt(2)
	v_mul_f32_e32 v33, v57, v39
	v_mul_f32_e32 v57, v57, v38
	v_fma_f32 v69, v52, v36, -v69
	v_fmac_f32_e32 v70, v52, v37
	v_fma_f32 v32, v54, v32, -v53
	global_load_dwordx4 v[52:55], v68, s[8:9] offset:3648
	v_fma_f32 v33, v56, v38, -v33
	v_fmac_f32_e32 v57, v56, v39
	global_load_dwordx4 v[36:39], v68, s[8:9] offset:3664
	v_mul_f32_e32 v56, v59, v35
	v_mul_f32_e32 v59, v59, v34
	v_fma_f32 v34, v58, v34, -v56
	v_fmac_f32_e32 v59, v58, v35
	s_waitcnt vmcnt(3) lgkmcnt(3)
	v_mul_f32_e32 v35, v61, v29
	v_mul_f32_e32 v56, v61, v28
	s_waitcnt lgkmcnt(2)
	v_mul_f32_e32 v58, v63, v25
	v_mul_f32_e32 v61, v63, v24
	s_waitcnt vmcnt(2) lgkmcnt(1)
	v_mul_f32_e32 v63, v65, v17
	v_mul_f32_e32 v65, v65, v16
	s_waitcnt lgkmcnt(0)
	v_mul_f32_e32 v68, v67, v21
	v_mul_f32_e32 v67, v67, v20
	v_fma_f32 v28, v60, v28, -v35
	v_fmac_f32_e32 v56, v60, v29
	v_fma_f32 v16, v64, v16, -v63
	v_fmac_f32_e32 v65, v64, v17
	;; [unrolled: 2-line block ×4, first 2 shown]
	s_waitcnt lgkmcnt(0)
	; wave barrier
	s_waitcnt vmcnt(1)
	v_mul_f32_e32 v29, v30, v53
	v_mul_f32_e32 v35, v27, v55
	;; [unrolled: 1-line block ×3, first 2 shown]
	s_waitcnt vmcnt(0)
	v_mul_f32_e32 v20, v19, v37
	v_mul_f32_e32 v37, v18, v37
	;; [unrolled: 1-line block ×3, first 2 shown]
	v_fmac_f32_e32 v29, v31, v52
	v_fma_f32 v31, v26, v54, -v35
	v_fma_f32 v35, v18, v36, -v20
	v_fmac_f32_e32 v37, v19, v36
	v_fma_f32 v36, v22, v38, -v21
	v_add_f32_e32 v18, v69, v17
	v_add_f32_e32 v21, v32, v16
	v_mul_f32_e32 v39, v22, v39
	v_fma_f32 v30, v30, v52, -v25
	v_add_f32_e32 v19, v70, v67
	v_add_f32_e32 v22, v71, v65
	;; [unrolled: 1-line block ×3, first 2 shown]
	v_sub_f32_e32 v24, v24, v28
	v_add_f32_e32 v28, v21, v18
	v_mul_f32_e32 v53, v26, v55
	v_fmac_f32_e32 v39, v23, v38
	v_sub_f32_e32 v16, v32, v16
	v_add_f32_e32 v26, v56, v61
	v_add_f32_e32 v32, v22, v19
	v_sub_f32_e32 v38, v21, v18
	v_sub_f32_e32 v18, v18, v25
	;; [unrolled: 1-line block ×3, first 2 shown]
	v_add_f32_e32 v25, v25, v28
	v_fmac_f32_e32 v53, v27, v54
	v_sub_f32_e32 v17, v69, v17
	v_sub_f32_e32 v20, v70, v67
	;; [unrolled: 1-line block ×7, first 2 shown]
	v_add_f32_e32 v26, v26, v32
	v_add_f32_e32 v12, v25, v12
	;; [unrolled: 1-line block ×4, first 2 shown]
	v_sub_f32_e32 v56, v24, v16
	v_sub_f32_e32 v58, v27, v23
	;; [unrolled: 1-line block ×4, first 2 shown]
	v_add_f32_e32 v13, v26, v13
	v_mov_b32_e32 v60, v12
	v_sub_f32_e32 v24, v17, v24
	v_sub_f32_e32 v27, v20, v27
	v_add_f32_e32 v17, v54, v17
	v_add_f32_e32 v20, v55, v20
	v_mul_f32_e32 v18, 0x3f4a47b2, v18
	v_mul_f32_e32 v19, 0x3f4a47b2, v19
	;; [unrolled: 1-line block ×8, first 2 shown]
	v_fmac_f32_e32 v60, 0xbf955555, v25
	v_mov_b32_e32 v25, v13
	v_fmac_f32_e32 v25, 0xbf955555, v26
	v_fma_f32 v26, v38, s7, -v28
	v_fma_f32 v28, v52, s7, -v32
	;; [unrolled: 1-line block ×3, first 2 shown]
	v_fmac_f32_e32 v18, 0x3d64c772, v21
	v_fma_f32 v21, v52, s10, -v19
	v_fmac_f32_e32 v19, 0x3d64c772, v22
	v_fma_f32 v38, v16, s6, -v54
	v_fmac_f32_e32 v54, 0x3eae86e6, v24
	v_fma_f32 v22, v23, s6, -v55
	v_fma_f32 v52, v24, s11, -v56
	v_fma_f32 v24, v27, s11, -v58
	v_fmac_f32_e32 v55, 0x3eae86e6, v27
	v_add_f32_e32 v23, v26, v60
	v_add_f32_e32 v26, v28, v25
	;; [unrolled: 1-line block ×3, first 2 shown]
	v_fmac_f32_e32 v38, 0x3ee1c552, v17
	v_fmac_f32_e32 v22, 0x3ee1c552, v20
	;; [unrolled: 1-line block ×3, first 2 shown]
	v_add_f32_e32 v27, v18, v60
	v_add_f32_e32 v56, v19, v25
	;; [unrolled: 1-line block ×3, first 2 shown]
	v_fmac_f32_e32 v55, 0x3ee1c552, v20
	v_add_f32_e32 v18, v24, v28
	v_sub_f32_e32 v20, v23, v22
	v_add_f32_e32 v21, v38, v26
	v_add_f32_e32 v22, v22, v23
	v_sub_f32_e32 v23, v26, v38
	v_sub_f32_e32 v24, v28, v24
	v_add_f32_e32 v28, v33, v36
	v_add_f32_e32 v38, v34, v35
	v_fmac_f32_e32 v52, 0x3ee1c552, v17
	v_add_f32_e32 v32, v57, v39
	v_sub_f32_e32 v33, v33, v36
	v_sub_f32_e32 v36, v57, v39
	v_add_f32_e32 v39, v59, v37
	v_sub_f32_e32 v34, v34, v35
	v_sub_f32_e32 v35, v59, v37
	v_add_f32_e32 v37, v30, v31
	v_sub_f32_e32 v30, v31, v30
	v_add_f32_e32 v31, v38, v28
	v_fmac_f32_e32 v54, 0x3ee1c552, v17
	v_sub_f32_e32 v19, v25, v52
	v_add_f32_e32 v25, v52, v25
	v_add_f32_e32 v52, v29, v53
	v_sub_f32_e32 v29, v53, v29
	v_add_f32_e32 v53, v39, v32
	v_add_f32_e32 v31, v37, v31
	;; [unrolled: 1-line block ×3, first 2 shown]
	v_sub_f32_e32 v17, v56, v54
	v_sub_f32_e32 v26, v27, v55
	v_add_f32_e32 v27, v54, v56
	v_sub_f32_e32 v54, v38, v28
	v_sub_f32_e32 v28, v28, v37
	;; [unrolled: 1-line block ×3, first 2 shown]
	v_add_f32_e32 v37, v52, v53
	v_add_f32_e32 v14, v31, v14
	v_sub_f32_e32 v55, v39, v32
	v_sub_f32_e32 v32, v32, v52
	;; [unrolled: 1-line block ×3, first 2 shown]
	v_add_f32_e32 v56, v30, v34
	v_add_f32_e32 v57, v29, v35
	v_sub_f32_e32 v58, v30, v34
	v_sub_f32_e32 v59, v29, v35
	;; [unrolled: 1-line block ×4, first 2 shown]
	v_add_f32_e32 v15, v37, v15
	v_mov_b32_e32 v60, v14
	v_sub_f32_e32 v30, v33, v30
	v_sub_f32_e32 v29, v36, v29
	v_add_f32_e32 v33, v56, v33
	v_add_f32_e32 v36, v57, v36
	v_mul_f32_e32 v28, 0x3f4a47b2, v28
	v_mul_f32_e32 v32, 0x3f4a47b2, v32
	;; [unrolled: 1-line block ×8, first 2 shown]
	v_fmac_f32_e32 v60, 0xbf955555, v31
	v_mov_b32_e32 v31, v15
	v_fmac_f32_e32 v31, 0xbf955555, v37
	v_fma_f32 v37, v54, s7, -v52
	v_fma_f32 v52, v55, s7, -v53
	v_fma_f32 v53, v54, s10, -v28
	v_fmac_f32_e32 v28, 0x3d64c772, v38
	v_fma_f32 v38, v55, s10, -v32
	v_fmac_f32_e32 v32, 0x3d64c772, v39
	v_fma_f32 v39, v34, s6, -v56
	;; [unrolled: 2-line block ×4, first 2 shown]
	v_fma_f32 v55, v29, s11, -v59
	v_add_f32_e32 v58, v28, v60
	v_add_f32_e32 v59, v32, v31
	;; [unrolled: 1-line block ×6, first 2 shown]
	v_fmac_f32_e32 v56, 0x3ee1c552, v33
	v_fmac_f32_e32 v57, 0x3ee1c552, v36
	;; [unrolled: 1-line block ×6, first 2 shown]
	v_add_f32_e32 v28, v57, v58
	v_sub_f32_e32 v29, v59, v56
	v_add_f32_e32 v30, v55, v52
	v_sub_f32_e32 v31, v38, v54
	v_sub_f32_e32 v32, v35, v34
	v_add_f32_e32 v33, v39, v37
	v_add_f32_e32 v34, v34, v35
	v_sub_f32_e32 v35, v37, v39
	v_sub_f32_e32 v36, v52, v55
	v_add_f32_e32 v37, v54, v38
	v_sub_f32_e32 v38, v58, v57
	v_add_f32_e32 v39, v56, v59
	ds_write2_b64 v46, v[12:13], v[14:15] offset1:56
	ds_write2_b64 v46, v[16:17], v[28:29] offset0:120 offset1:176
	ds_write2_b64 v49, v[18:19], v[30:31] offset0:112 offset1:168
	;; [unrolled: 1-line block ×6, first 2 shown]
	s_and_saveexec_b64 s[4:5], vcc
	s_cbranch_execz .LBB0_33
; %bb.32:
	v_add_u32_e32 v12, -8, v40
	v_cndmask_b32_e32 v12, v12, v41, vcc
	v_mul_i32_i24_e32 v12, 6, v12
	v_mov_b32_e32 v13, 0
	v_lshlrev_b64 v[12:13], 3, v[12:13]
	v_mov_b32_e32 v14, s9
	v_add_co_u32_e32 v24, vcc, s8, v12
	v_addc_co_u32_e32 v25, vcc, v14, v13, vcc
	global_load_dwordx4 v[12:15], v[24:25], off offset:944
	global_load_dwordx4 v[16:19], v[24:25], off offset:976
	;; [unrolled: 1-line block ×3, first 2 shown]
	s_waitcnt vmcnt(2)
	v_mul_f32_e32 v24, v3, v13
	s_waitcnt vmcnt(1)
	v_mul_f32_e32 v25, v45, v19
	;; [unrolled: 2-line block ×3, first 2 shown]
	v_mul_f32_e32 v27, v7, v21
	v_mul_f32_e32 v28, v5, v15
	;; [unrolled: 1-line block ×9, first 2 shown]
	v_fma_f32 v2, v2, v12, -v24
	v_fma_f32 v24, v44, v18, -v25
	v_fma_f32 v8, v8, v22, -v26
	v_fma_f32 v6, v6, v20, -v27
	v_fma_f32 v4, v4, v14, -v28
	v_fma_f32 v10, v10, v16, -v29
	v_fmac_f32_e32 v19, v45, v18
	v_fmac_f32_e32 v13, v3, v12
	;; [unrolled: 1-line block ×6, first 2 shown]
	v_sub_f32_e32 v3, v2, v24
	v_sub_f32_e32 v5, v8, v6
	;; [unrolled: 1-line block ×3, first 2 shown]
	v_add_f32_e32 v9, v13, v19
	v_add_f32_e32 v11, v21, v23
	;; [unrolled: 1-line block ×6, first 2 shown]
	v_sub_f32_e32 v6, v13, v19
	v_sub_f32_e32 v8, v23, v21
	;; [unrolled: 1-line block ×5, first 2 shown]
	v_add_f32_e32 v5, v5, v7
	v_sub_f32_e32 v16, v9, v11
	v_add_f32_e32 v21, v4, v14
	v_sub_f32_e32 v17, v11, v12
	;; [unrolled: 2-line block ×3, first 2 shown]
	v_sub_f32_e32 v20, v2, v4
	v_sub_f32_e32 v9, v12, v9
	v_mul_f32_e32 v12, 0xbf08b237, v15
	v_add_f32_e32 v15, v5, v3
	v_mul_f32_e32 v5, 0x3f4a47b2, v16
	v_add_f32_e32 v2, v2, v21
	v_mov_b32_e32 v24, v5
	v_add_f32_e32 v0, v0, v2
	v_sub_f32_e32 v22, v6, v8
	v_sub_f32_e32 v23, v8, v10
	v_add_f32_e32 v8, v8, v10
	v_sub_f32_e32 v7, v7, v3
	v_mul_f32_e32 v16, 0x3d64c772, v17
	v_add_f32_e32 v3, v11, v18
	v_mul_f32_e32 v11, 0x3f4a47b2, v19
	v_fmac_f32_e32 v24, 0x3d64c772, v17
	v_mov_b32_e32 v17, v0
	v_sub_f32_e32 v14, v4, v14
	v_mul_f32_e32 v19, 0xbf08b237, v23
	v_add_f32_e32 v8, v8, v6
	v_mul_f32_e32 v21, 0x3f5ff5aa, v7
	v_mov_b32_e32 v23, v12
	v_add_f32_e32 v1, v1, v3
	v_fmac_f32_e32 v17, 0xbf955555, v2
	v_fma_f32 v4, v14, s10, -v11
	v_sub_f32_e32 v6, v10, v6
	v_mul_f32_e32 v18, 0x3d64c772, v20
	v_mov_b32_e32 v25, v11
	v_mov_b32_e32 v26, v19
	v_fma_f32 v21, v13, s11, -v21
	v_fmac_f32_e32 v23, 0x3eae86e6, v13
	v_mov_b32_e32 v13, v1
	v_add_f32_e32 v27, v4, v17
	v_mul_f32_e32 v4, 0x3f5ff5aa, v6
	v_fmac_f32_e32 v25, 0x3d64c772, v20
	v_fmac_f32_e32 v26, 0x3eae86e6, v22
	;; [unrolled: 1-line block ×3, first 2 shown]
	v_fma_f32 v10, v22, s11, -v4
	v_fma_f32 v11, v7, s6, -v12
	;; [unrolled: 1-line block ×4, first 2 shown]
	v_fmac_f32_e32 v23, 0x3ee1c552, v15
	v_fmac_f32_e32 v26, 0x3ee1c552, v8
	v_add_f32_e32 v20, v24, v13
	v_add_f32_e32 v24, v25, v17
	v_fma_f32 v5, v9, s10, -v5
	v_fmac_f32_e32 v10, 0x3ee1c552, v8
	v_fma_f32 v9, v9, s7, -v16
	v_fmac_f32_e32 v12, 0x3ee1c552, v8
	v_add_f32_e32 v8, v6, v17
	v_fmac_f32_e32 v21, 0x3ee1c552, v15
	v_add_f32_e32 v25, v5, v13
	v_add_f32_e32 v9, v9, v13
	v_fmac_f32_e32 v11, 0x3ee1c552, v15
	v_add_f32_e32 v6, v12, v8
	v_sub_f32_e32 v8, v8, v12
	v_sub_f32_e32 v13, v20, v23
	v_add_f32_e32 v12, v26, v24
	v_sub_f32_e32 v4, v27, v10
	v_sub_f32_e32 v7, v9, v11
	v_add_f32_e32 v9, v11, v9
	v_sub_f32_e32 v11, v25, v21
	v_add_f32_e32 v10, v10, v27
	ds_write2_b64 v46, v[0:1], v[12:13] offset0:112 offset1:232
	v_add_u32_e32 v0, 0x800, v46
	v_add_f32_e32 v5, v21, v25
	ds_write2_b64 v0, v[10:11], v[8:9] offset0:96 offset1:216
	v_add_u32_e32 v0, 0x1000, v46
	v_add_f32_e32 v3, v23, v20
	v_sub_f32_e32 v2, v24, v26
	ds_write2_b64 v0, v[6:7], v[4:5] offset0:80 offset1:200
	ds_write_b64 v46, v[2:3] offset:6656
.LBB0_33:
	s_or_b64 exec, exec, s[4:5]
	s_waitcnt lgkmcnt(0)
	; wave barrier
	s_waitcnt lgkmcnt(0)
	s_and_saveexec_b64 s[4:5], s[0:1]
	s_cbranch_execz .LBB0_35
; %bb.34:
	v_lshl_add_u32 v6, v40, 3, 0
	v_mov_b32_e32 v41, 0
	ds_read2_b64 v[0:3], v6 offset1:56
	v_mov_b32_e32 v4, s3
	v_add_co_u32_e32 v7, vcc, s2, v42
	v_addc_co_u32_e32 v8, vcc, v4, v43, vcc
	v_lshlrev_b64 v[4:5], 3, v[40:41]
	v_add_u32_e32 v9, 0x800, v6
	v_add_co_u32_e32 v4, vcc, v7, v4
	v_addc_co_u32_e32 v5, vcc, v8, v5, vcc
	s_waitcnt lgkmcnt(0)
	global_store_dwordx2 v[4:5], v[0:1], off
	v_add_u32_e32 v0, 56, v40
	v_mov_b32_e32 v1, v41
	v_lshlrev_b64 v[0:1], 3, v[0:1]
	v_add_u32_e32 v4, 0x70, v40
	v_add_co_u32_e32 v0, vcc, v7, v0
	v_addc_co_u32_e32 v1, vcc, v8, v1, vcc
	global_store_dwordx2 v[0:1], v[2:3], off
	v_mov_b32_e32 v5, v41
	ds_read2_b64 v[0:3], v6 offset0:112 offset1:168
	v_lshlrev_b64 v[4:5], 3, v[4:5]
	v_add_co_u32_e32 v4, vcc, v7, v4
	v_addc_co_u32_e32 v5, vcc, v8, v5, vcc
	s_waitcnt lgkmcnt(0)
	global_store_dwordx2 v[4:5], v[0:1], off
	v_add_u32_e32 v0, 0xa8, v40
	v_mov_b32_e32 v1, v41
	v_lshlrev_b64 v[0:1], 3, v[0:1]
	v_add_u32_e32 v4, 0xe0, v40
	v_add_co_u32_e32 v0, vcc, v7, v0
	v_addc_co_u32_e32 v1, vcc, v8, v1, vcc
	global_store_dwordx2 v[0:1], v[2:3], off
	v_add_u32_e32 v0, 0x400, v6
	v_mov_b32_e32 v5, v41
	ds_read2_b64 v[0:3], v0 offset0:96 offset1:152
	v_lshlrev_b64 v[4:5], 3, v[4:5]
	v_add_co_u32_e32 v4, vcc, v7, v4
	v_addc_co_u32_e32 v5, vcc, v8, v5, vcc
	s_waitcnt lgkmcnt(0)
	global_store_dwordx2 v[4:5], v[0:1], off
	v_add_u32_e32 v0, 0x118, v40
	v_mov_b32_e32 v1, v41
	v_lshlrev_b64 v[0:1], 3, v[0:1]
	v_add_u32_e32 v4, 0x150, v40
	v_add_co_u32_e32 v0, vcc, v7, v0
	v_addc_co_u32_e32 v1, vcc, v8, v1, vcc
	global_store_dwordx2 v[0:1], v[2:3], off
	v_mov_b32_e32 v5, v41
	ds_read2_b64 v[0:3], v9 offset0:80 offset1:136
	v_lshlrev_b64 v[4:5], 3, v[4:5]
	v_add_co_u32_e32 v4, vcc, v7, v4
	v_addc_co_u32_e32 v5, vcc, v8, v5, vcc
	s_waitcnt lgkmcnt(0)
	global_store_dwordx2 v[4:5], v[0:1], off
	v_add_u32_e32 v0, 0x188, v40
	v_mov_b32_e32 v1, v41
	v_lshlrev_b64 v[0:1], 3, v[0:1]
	v_add_u32_e32 v4, 0x1c0, v40
	v_add_co_u32_e32 v0, vcc, v7, v0
	v_addc_co_u32_e32 v1, vcc, v8, v1, vcc
	global_store_dwordx2 v[0:1], v[2:3], off
	v_mov_b32_e32 v5, v41
	ds_read2_b64 v[0:3], v9 offset0:192 offset1:248
	v_lshlrev_b64 v[4:5], 3, v[4:5]
	v_add_u32_e32 v9, 0x1000, v6
	v_add_co_u32_e32 v4, vcc, v7, v4
	v_addc_co_u32_e32 v5, vcc, v8, v5, vcc
	s_waitcnt lgkmcnt(0)
	global_store_dwordx2 v[4:5], v[0:1], off
	v_add_u32_e32 v0, 0x1f8, v40
	v_mov_b32_e32 v1, v41
	v_lshlrev_b64 v[0:1], 3, v[0:1]
	v_add_u32_e32 v4, 0x230, v40
	v_add_co_u32_e32 v0, vcc, v7, v0
	v_addc_co_u32_e32 v1, vcc, v8, v1, vcc
	global_store_dwordx2 v[0:1], v[2:3], off
	v_mov_b32_e32 v5, v41
	ds_read2_b64 v[0:3], v9 offset0:48 offset1:104
	v_lshlrev_b64 v[4:5], 3, v[4:5]
	v_add_co_u32_e32 v4, vcc, v7, v4
	v_addc_co_u32_e32 v5, vcc, v8, v5, vcc
	s_waitcnt lgkmcnt(0)
	global_store_dwordx2 v[4:5], v[0:1], off
	v_add_u32_e32 v0, 0x268, v40
	v_mov_b32_e32 v1, v41
	v_lshlrev_b64 v[0:1], 3, v[0:1]
	v_add_u32_e32 v4, 0x2a0, v40
	v_add_co_u32_e32 v0, vcc, v7, v0
	v_addc_co_u32_e32 v1, vcc, v8, v1, vcc
	global_store_dwordx2 v[0:1], v[2:3], off
	v_mov_b32_e32 v5, v41
	ds_read2_b64 v[0:3], v9 offset0:160 offset1:216
	v_lshlrev_b64 v[4:5], 3, v[4:5]
	v_add_co_u32_e32 v4, vcc, v7, v4
	v_addc_co_u32_e32 v5, vcc, v8, v5, vcc
	s_waitcnt lgkmcnt(0)
	global_store_dwordx2 v[4:5], v[0:1], off
	v_add_u32_e32 v0, 0x2d8, v40
	v_mov_b32_e32 v1, v41
	v_lshlrev_b64 v[0:1], 3, v[0:1]
	v_add_u32_e32 v40, 0x310, v40
	v_add_co_u32_e32 v0, vcc, v7, v0
	v_addc_co_u32_e32 v1, vcc, v8, v1, vcc
	global_store_dwordx2 v[0:1], v[2:3], off
	ds_read_b64 v[0:1], v6 offset:6272
	v_lshlrev_b64 v[2:3], 3, v[40:41]
	v_add_co_u32_e32 v2, vcc, v7, v2
	v_addc_co_u32_e32 v3, vcc, v8, v3, vcc
	s_waitcnt lgkmcnt(0)
	global_store_dwordx2 v[2:3], v[0:1], off
.LBB0_35:
	s_endpgm
	.section	.rodata,"a",@progbits
	.p2align	6, 0x0
	.amdhsa_kernel fft_rtc_fwd_len840_factors_2_2_2_3_5_7_wgs_56_tpt_56_halfLds_sp_ip_CI_unitstride_sbrr_C2R_dirReg
		.amdhsa_group_segment_fixed_size 0
		.amdhsa_private_segment_fixed_size 0
		.amdhsa_kernarg_size 88
		.amdhsa_user_sgpr_count 6
		.amdhsa_user_sgpr_private_segment_buffer 1
		.amdhsa_user_sgpr_dispatch_ptr 0
		.amdhsa_user_sgpr_queue_ptr 0
		.amdhsa_user_sgpr_kernarg_segment_ptr 1
		.amdhsa_user_sgpr_dispatch_id 0
		.amdhsa_user_sgpr_flat_scratch_init 0
		.amdhsa_user_sgpr_private_segment_size 0
		.amdhsa_uses_dynamic_stack 0
		.amdhsa_system_sgpr_private_segment_wavefront_offset 0
		.amdhsa_system_sgpr_workgroup_id_x 1
		.amdhsa_system_sgpr_workgroup_id_y 0
		.amdhsa_system_sgpr_workgroup_id_z 0
		.amdhsa_system_sgpr_workgroup_info 0
		.amdhsa_system_vgpr_workitem_id 0
		.amdhsa_next_free_vgpr 72
		.amdhsa_next_free_sgpr 22
		.amdhsa_reserve_vcc 1
		.amdhsa_reserve_flat_scratch 0
		.amdhsa_float_round_mode_32 0
		.amdhsa_float_round_mode_16_64 0
		.amdhsa_float_denorm_mode_32 3
		.amdhsa_float_denorm_mode_16_64 3
		.amdhsa_dx10_clamp 1
		.amdhsa_ieee_mode 1
		.amdhsa_fp16_overflow 0
		.amdhsa_exception_fp_ieee_invalid_op 0
		.amdhsa_exception_fp_denorm_src 0
		.amdhsa_exception_fp_ieee_div_zero 0
		.amdhsa_exception_fp_ieee_overflow 0
		.amdhsa_exception_fp_ieee_underflow 0
		.amdhsa_exception_fp_ieee_inexact 0
		.amdhsa_exception_int_div_zero 0
	.end_amdhsa_kernel
	.text
.Lfunc_end0:
	.size	fft_rtc_fwd_len840_factors_2_2_2_3_5_7_wgs_56_tpt_56_halfLds_sp_ip_CI_unitstride_sbrr_C2R_dirReg, .Lfunc_end0-fft_rtc_fwd_len840_factors_2_2_2_3_5_7_wgs_56_tpt_56_halfLds_sp_ip_CI_unitstride_sbrr_C2R_dirReg
                                        ; -- End function
	.section	.AMDGPU.csdata,"",@progbits
; Kernel info:
; codeLenInByte = 10020
; NumSgprs: 26
; NumVgprs: 72
; ScratchSize: 0
; MemoryBound: 0
; FloatMode: 240
; IeeeMode: 1
; LDSByteSize: 0 bytes/workgroup (compile time only)
; SGPRBlocks: 3
; VGPRBlocks: 17
; NumSGPRsForWavesPerEU: 26
; NumVGPRsForWavesPerEU: 72
; Occupancy: 3
; WaveLimiterHint : 1
; COMPUTE_PGM_RSRC2:SCRATCH_EN: 0
; COMPUTE_PGM_RSRC2:USER_SGPR: 6
; COMPUTE_PGM_RSRC2:TRAP_HANDLER: 0
; COMPUTE_PGM_RSRC2:TGID_X_EN: 1
; COMPUTE_PGM_RSRC2:TGID_Y_EN: 0
; COMPUTE_PGM_RSRC2:TGID_Z_EN: 0
; COMPUTE_PGM_RSRC2:TIDIG_COMP_CNT: 0
	.type	__hip_cuid_c9354702a86c3505,@object ; @__hip_cuid_c9354702a86c3505
	.section	.bss,"aw",@nobits
	.globl	__hip_cuid_c9354702a86c3505
__hip_cuid_c9354702a86c3505:
	.byte	0                               ; 0x0
	.size	__hip_cuid_c9354702a86c3505, 1

	.ident	"AMD clang version 19.0.0git (https://github.com/RadeonOpenCompute/llvm-project roc-6.4.0 25133 c7fe45cf4b819c5991fe208aaa96edf142730f1d)"
	.section	".note.GNU-stack","",@progbits
	.addrsig
	.addrsig_sym __hip_cuid_c9354702a86c3505
	.amdgpu_metadata
---
amdhsa.kernels:
  - .args:
      - .actual_access:  read_only
        .address_space:  global
        .offset:         0
        .size:           8
        .value_kind:     global_buffer
      - .offset:         8
        .size:           8
        .value_kind:     by_value
      - .actual_access:  read_only
        .address_space:  global
        .offset:         16
        .size:           8
        .value_kind:     global_buffer
      - .actual_access:  read_only
        .address_space:  global
        .offset:         24
        .size:           8
        .value_kind:     global_buffer
      - .offset:         32
        .size:           8
        .value_kind:     by_value
      - .actual_access:  read_only
        .address_space:  global
        .offset:         40
        .size:           8
        .value_kind:     global_buffer
      - .actual_access:  read_only
        .address_space:  global
        .offset:         48
        .size:           8
        .value_kind:     global_buffer
      - .offset:         56
        .size:           4
        .value_kind:     by_value
      - .actual_access:  read_only
        .address_space:  global
        .offset:         64
        .size:           8
        .value_kind:     global_buffer
      - .actual_access:  read_only
        .address_space:  global
        .offset:         72
        .size:           8
        .value_kind:     global_buffer
      - .address_space:  global
        .offset:         80
        .size:           8
        .value_kind:     global_buffer
    .group_segment_fixed_size: 0
    .kernarg_segment_align: 8
    .kernarg_segment_size: 88
    .language:       OpenCL C
    .language_version:
      - 2
      - 0
    .max_flat_workgroup_size: 56
    .name:           fft_rtc_fwd_len840_factors_2_2_2_3_5_7_wgs_56_tpt_56_halfLds_sp_ip_CI_unitstride_sbrr_C2R_dirReg
    .private_segment_fixed_size: 0
    .sgpr_count:     26
    .sgpr_spill_count: 0
    .symbol:         fft_rtc_fwd_len840_factors_2_2_2_3_5_7_wgs_56_tpt_56_halfLds_sp_ip_CI_unitstride_sbrr_C2R_dirReg.kd
    .uniform_work_group_size: 1
    .uses_dynamic_stack: false
    .vgpr_count:     72
    .vgpr_spill_count: 0
    .wavefront_size: 64
amdhsa.target:   amdgcn-amd-amdhsa--gfx906
amdhsa.version:
  - 1
  - 2
...

	.end_amdgpu_metadata
